;; amdgpu-corpus repo=ROCm/rocFFT kind=compiled arch=gfx1030 opt=O3
	.text
	.amdgcn_target "amdgcn-amd-amdhsa--gfx1030"
	.amdhsa_code_object_version 6
	.protected	fft_rtc_back_len896_factors_2_2_2_2_2_2_2_7_wgs_112_tpt_112_half_ip_CI_unitstride_sbrr_R2C_dirReg ; -- Begin function fft_rtc_back_len896_factors_2_2_2_2_2_2_2_7_wgs_112_tpt_112_half_ip_CI_unitstride_sbrr_R2C_dirReg
	.globl	fft_rtc_back_len896_factors_2_2_2_2_2_2_2_7_wgs_112_tpt_112_half_ip_CI_unitstride_sbrr_R2C_dirReg
	.p2align	8
	.type	fft_rtc_back_len896_factors_2_2_2_2_2_2_2_7_wgs_112_tpt_112_half_ip_CI_unitstride_sbrr_R2C_dirReg,@function
fft_rtc_back_len896_factors_2_2_2_2_2_2_2_7_wgs_112_tpt_112_half_ip_CI_unitstride_sbrr_R2C_dirReg: ; @fft_rtc_back_len896_factors_2_2_2_2_2_2_2_7_wgs_112_tpt_112_half_ip_CI_unitstride_sbrr_R2C_dirReg
; %bb.0:
	s_clause 0x2
	s_load_dwordx4 s[8:11], s[4:5], 0x0
	s_load_dwordx2 s[2:3], s[4:5], 0x50
	s_load_dwordx2 s[12:13], s[4:5], 0x18
	v_mul_u32_u24_e32 v1, 0x24a, v0
	v_mov_b32_e32 v3, 0
	v_add_nc_u32_sdwa v5, s6, v1 dst_sel:DWORD dst_unused:UNUSED_PAD src0_sel:DWORD src1_sel:WORD_1
	v_mov_b32_e32 v1, 0
	v_mov_b32_e32 v6, v3
	v_mov_b32_e32 v2, 0
	s_waitcnt lgkmcnt(0)
	v_cmp_lt_u64_e64 s0, s[10:11], 2
	s_and_b32 vcc_lo, exec_lo, s0
	s_cbranch_vccnz .LBB0_8
; %bb.1:
	s_load_dwordx2 s[0:1], s[4:5], 0x10
	v_mov_b32_e32 v1, 0
	s_add_u32 s6, s12, 8
	v_mov_b32_e32 v2, 0
	s_addc_u32 s7, s13, 0
	s_mov_b64 s[16:17], 1
	s_waitcnt lgkmcnt(0)
	s_add_u32 s14, s0, 8
	s_addc_u32 s15, s1, 0
.LBB0_2:                                ; =>This Inner Loop Header: Depth=1
	s_load_dwordx2 s[18:19], s[14:15], 0x0
                                        ; implicit-def: $vgpr8_vgpr9
	s_mov_b32 s0, exec_lo
	s_waitcnt lgkmcnt(0)
	v_or_b32_e32 v4, s19, v6
	v_cmpx_ne_u64_e32 0, v[3:4]
	s_xor_b32 s1, exec_lo, s0
	s_cbranch_execz .LBB0_4
; %bb.3:                                ;   in Loop: Header=BB0_2 Depth=1
	v_cvt_f32_u32_e32 v4, s18
	v_cvt_f32_u32_e32 v7, s19
	s_sub_u32 s0, 0, s18
	s_subb_u32 s20, 0, s19
	v_fmac_f32_e32 v4, 0x4f800000, v7
	v_rcp_f32_e32 v4, v4
	v_mul_f32_e32 v4, 0x5f7ffffc, v4
	v_mul_f32_e32 v7, 0x2f800000, v4
	v_trunc_f32_e32 v7, v7
	v_fmac_f32_e32 v4, 0xcf800000, v7
	v_cvt_u32_f32_e32 v7, v7
	v_cvt_u32_f32_e32 v4, v4
	v_mul_lo_u32 v8, s0, v7
	v_mul_hi_u32 v9, s0, v4
	v_mul_lo_u32 v10, s20, v4
	v_add_nc_u32_e32 v8, v9, v8
	v_mul_lo_u32 v9, s0, v4
	v_add_nc_u32_e32 v8, v8, v10
	v_mul_hi_u32 v10, v4, v9
	v_mul_lo_u32 v11, v4, v8
	v_mul_hi_u32 v12, v4, v8
	v_mul_hi_u32 v13, v7, v9
	v_mul_lo_u32 v9, v7, v9
	v_mul_hi_u32 v14, v7, v8
	v_mul_lo_u32 v8, v7, v8
	v_add_co_u32 v10, vcc_lo, v10, v11
	v_add_co_ci_u32_e32 v11, vcc_lo, 0, v12, vcc_lo
	v_add_co_u32 v9, vcc_lo, v10, v9
	v_add_co_ci_u32_e32 v9, vcc_lo, v11, v13, vcc_lo
	v_add_co_ci_u32_e32 v10, vcc_lo, 0, v14, vcc_lo
	v_add_co_u32 v8, vcc_lo, v9, v8
	v_add_co_ci_u32_e32 v9, vcc_lo, 0, v10, vcc_lo
	v_add_co_u32 v4, vcc_lo, v4, v8
	v_add_co_ci_u32_e32 v7, vcc_lo, v7, v9, vcc_lo
	v_mul_hi_u32 v8, s0, v4
	v_mul_lo_u32 v10, s20, v4
	v_mul_lo_u32 v9, s0, v7
	v_add_nc_u32_e32 v8, v8, v9
	v_mul_lo_u32 v9, s0, v4
	v_add_nc_u32_e32 v8, v8, v10
	v_mul_hi_u32 v10, v4, v9
	v_mul_lo_u32 v11, v4, v8
	v_mul_hi_u32 v12, v4, v8
	v_mul_hi_u32 v13, v7, v9
	v_mul_lo_u32 v9, v7, v9
	v_mul_hi_u32 v14, v7, v8
	v_mul_lo_u32 v8, v7, v8
	v_add_co_u32 v10, vcc_lo, v10, v11
	v_add_co_ci_u32_e32 v11, vcc_lo, 0, v12, vcc_lo
	v_add_co_u32 v9, vcc_lo, v10, v9
	v_add_co_ci_u32_e32 v9, vcc_lo, v11, v13, vcc_lo
	v_add_co_ci_u32_e32 v10, vcc_lo, 0, v14, vcc_lo
	v_add_co_u32 v8, vcc_lo, v9, v8
	v_add_co_ci_u32_e32 v9, vcc_lo, 0, v10, vcc_lo
	v_add_co_u32 v4, vcc_lo, v4, v8
	v_add_co_ci_u32_e32 v11, vcc_lo, v7, v9, vcc_lo
	v_mul_hi_u32 v13, v5, v4
	v_mad_u64_u32 v[9:10], null, v6, v4, 0
	v_mad_u64_u32 v[7:8], null, v5, v11, 0
	;; [unrolled: 1-line block ×3, first 2 shown]
	v_add_co_u32 v4, vcc_lo, v13, v7
	v_add_co_ci_u32_e32 v7, vcc_lo, 0, v8, vcc_lo
	v_add_co_u32 v4, vcc_lo, v4, v9
	v_add_co_ci_u32_e32 v4, vcc_lo, v7, v10, vcc_lo
	v_add_co_ci_u32_e32 v7, vcc_lo, 0, v12, vcc_lo
	v_add_co_u32 v4, vcc_lo, v4, v11
	v_add_co_ci_u32_e32 v9, vcc_lo, 0, v7, vcc_lo
	v_mul_lo_u32 v10, s19, v4
	v_mad_u64_u32 v[7:8], null, s18, v4, 0
	v_mul_lo_u32 v11, s18, v9
	v_sub_co_u32 v7, vcc_lo, v5, v7
	v_add3_u32 v8, v8, v11, v10
	v_sub_nc_u32_e32 v10, v6, v8
	v_subrev_co_ci_u32_e64 v10, s0, s19, v10, vcc_lo
	v_add_co_u32 v11, s0, v4, 2
	v_add_co_ci_u32_e64 v12, s0, 0, v9, s0
	v_sub_co_u32 v13, s0, v7, s18
	v_sub_co_ci_u32_e32 v8, vcc_lo, v6, v8, vcc_lo
	v_subrev_co_ci_u32_e64 v10, s0, 0, v10, s0
	v_cmp_le_u32_e32 vcc_lo, s18, v13
	v_cmp_eq_u32_e64 s0, s19, v8
	v_cndmask_b32_e64 v13, 0, -1, vcc_lo
	v_cmp_le_u32_e32 vcc_lo, s19, v10
	v_cndmask_b32_e64 v14, 0, -1, vcc_lo
	v_cmp_le_u32_e32 vcc_lo, s18, v7
	;; [unrolled: 2-line block ×3, first 2 shown]
	v_cndmask_b32_e64 v15, 0, -1, vcc_lo
	v_cmp_eq_u32_e32 vcc_lo, s19, v10
	v_cndmask_b32_e64 v7, v15, v7, s0
	v_cndmask_b32_e32 v10, v14, v13, vcc_lo
	v_add_co_u32 v13, vcc_lo, v4, 1
	v_add_co_ci_u32_e32 v14, vcc_lo, 0, v9, vcc_lo
	v_cmp_ne_u32_e32 vcc_lo, 0, v10
	v_cndmask_b32_e32 v8, v14, v12, vcc_lo
	v_cndmask_b32_e32 v10, v13, v11, vcc_lo
	v_cmp_ne_u32_e32 vcc_lo, 0, v7
	v_cndmask_b32_e32 v9, v9, v8, vcc_lo
	v_cndmask_b32_e32 v8, v4, v10, vcc_lo
.LBB0_4:                                ;   in Loop: Header=BB0_2 Depth=1
	s_andn2_saveexec_b32 s0, s1
	s_cbranch_execz .LBB0_6
; %bb.5:                                ;   in Loop: Header=BB0_2 Depth=1
	v_cvt_f32_u32_e32 v4, s18
	s_sub_i32 s1, 0, s18
	v_rcp_iflag_f32_e32 v4, v4
	v_mul_f32_e32 v4, 0x4f7ffffe, v4
	v_cvt_u32_f32_e32 v4, v4
	v_mul_lo_u32 v7, s1, v4
	v_mul_hi_u32 v7, v4, v7
	v_add_nc_u32_e32 v4, v4, v7
	v_mul_hi_u32 v4, v5, v4
	v_mul_lo_u32 v7, v4, s18
	v_add_nc_u32_e32 v8, 1, v4
	v_sub_nc_u32_e32 v7, v5, v7
	v_subrev_nc_u32_e32 v9, s18, v7
	v_cmp_le_u32_e32 vcc_lo, s18, v7
	v_cndmask_b32_e32 v7, v7, v9, vcc_lo
	v_cndmask_b32_e32 v4, v4, v8, vcc_lo
	v_mov_b32_e32 v9, v3
	v_cmp_le_u32_e32 vcc_lo, s18, v7
	v_add_nc_u32_e32 v8, 1, v4
	v_cndmask_b32_e32 v8, v4, v8, vcc_lo
.LBB0_6:                                ;   in Loop: Header=BB0_2 Depth=1
	s_or_b32 exec_lo, exec_lo, s0
	s_load_dwordx2 s[0:1], s[6:7], 0x0
	v_mul_lo_u32 v4, v9, s18
	v_mul_lo_u32 v7, v8, s19
	v_mad_u64_u32 v[10:11], null, v8, s18, 0
	s_add_u32 s16, s16, 1
	s_addc_u32 s17, s17, 0
	s_add_u32 s6, s6, 8
	s_addc_u32 s7, s7, 0
	;; [unrolled: 2-line block ×3, first 2 shown]
	v_add3_u32 v4, v11, v7, v4
	v_sub_co_u32 v5, vcc_lo, v5, v10
	v_sub_co_ci_u32_e32 v4, vcc_lo, v6, v4, vcc_lo
	s_waitcnt lgkmcnt(0)
	v_mul_lo_u32 v6, s1, v5
	v_mul_lo_u32 v4, s0, v4
	v_mad_u64_u32 v[1:2], null, s0, v5, v[1:2]
	v_cmp_ge_u64_e64 s0, s[16:17], s[10:11]
	s_and_b32 vcc_lo, exec_lo, s0
	v_add3_u32 v2, v6, v2, v4
	s_cbranch_vccnz .LBB0_9
; %bb.7:                                ;   in Loop: Header=BB0_2 Depth=1
	v_mov_b32_e32 v5, v8
	v_mov_b32_e32 v6, v9
	s_branch .LBB0_2
.LBB0_8:
	v_mov_b32_e32 v9, v6
	v_mov_b32_e32 v8, v5
.LBB0_9:
	s_lshl_b64 s[0:1], s[10:11], 3
	v_mul_hi_u32 v3, 0x2492493, v0
	s_add_u32 s0, s12, s0
	s_addc_u32 s1, s13, s1
	s_load_dwordx2 s[4:5], s[4:5], 0x20
	s_load_dwordx2 s[0:1], s[0:1], 0x0
	v_mul_u32_u24_e32 v3, 0x70, v3
	v_sub_nc_u32_e32 v0, v0, v3
	v_add_nc_u32_e32 v7, 0xe0, v0
	s_waitcnt lgkmcnt(0)
	v_cmp_gt_u64_e32 vcc_lo, s[4:5], v[8:9]
	v_mul_lo_u32 v5, s0, v9
	v_mul_lo_u32 v6, s1, v8
	v_mad_u64_u32 v[3:4], null, s0, v8, v[1:2]
	v_cmp_le_u64_e64 s0, s[4:5], v[8:9]
	v_add_nc_u32_e32 v2, 0x70, v0
	v_add3_u32 v4, v6, v4, v5
	v_add_nc_u32_e32 v6, 0x150, v0
	s_and_saveexec_b32 s1, s0
	s_xor_b32 s0, exec_lo, s1
; %bb.10:
	v_add_nc_u32_e32 v2, 0x70, v0
	v_add_nc_u32_e32 v7, 0xe0, v0
	;; [unrolled: 1-line block ×3, first 2 shown]
; %bb.11:
	s_or_saveexec_b32 s1, s0
	v_lshlrev_b64 v[4:5], 2, v[3:4]
	s_xor_b32 exec_lo, exec_lo, s1
	s_cbranch_execz .LBB0_13
; %bb.12:
	v_mov_b32_e32 v1, 0
	v_lshlrev_b64 v[8:9], 2, v[0:1]
	v_add_co_u32 v1, s0, s2, v4
	v_add_co_ci_u32_e64 v3, s0, s3, v5, s0
	v_add_co_u32 v8, s0, v1, v8
	v_add_co_ci_u32_e64 v9, s0, v3, v9, s0
	;; [unrolled: 2-line block ×3, first 2 shown]
	s_clause 0x7
	global_load_dword v1, v[8:9], off
	global_load_dword v3, v[8:9], off offset:448
	global_load_dword v12, v[8:9], off offset:896
	;; [unrolled: 1-line block ×7, first 2 shown]
	v_lshl_add_u32 v11, v0, 2, 0
	v_add_nc_u32_e32 v15, 0x200, v11
	v_add_nc_u32_e32 v16, 0x600, v11
	;; [unrolled: 1-line block ×3, first 2 shown]
	s_waitcnt vmcnt(6)
	ds_write2_b32 v11, v1, v3 offset1:112
	s_waitcnt vmcnt(4)
	ds_write2_b32 v15, v12, v13 offset0:96 offset1:208
	s_waitcnt vmcnt(2)
	ds_write2_b32 v16, v8, v9 offset0:64 offset1:176
	;; [unrolled: 2-line block ×3, first 2 shown]
.LBB0_13:
	s_or_b32 exec_lo, exec_lo, s1
	v_lshlrev_b32_e32 v1, 2, v0
	s_waitcnt lgkmcnt(0)
	s_barrier
	buffer_gl0_inv
	v_and_b32_e32 v26, 1, v0
	v_add_nc_u32_e32 v20, 0, v1
	v_lshl_add_u32 v22, v7, 3, 0
	v_lshl_add_u32 v21, v6, 3, 0
	v_lshlrev_b32_e32 v23, 2, v6
	v_and_b32_e32 v32, 3, v0
	v_add_nc_u32_e32 v3, 0x600, v20
	v_add_nc_u32_e32 v8, 0x200, v20
	;; [unrolled: 1-line block ×4, first 2 shown]
	ds_read2_b32 v[9:10], v20 offset1:112
	ds_read2_b32 v[11:12], v3 offset0:64 offset1:176
	ds_read2_b32 v[13:14], v8 offset0:96 offset1:208
	;; [unrolled: 1-line block ×3, first 2 shown]
	v_lshlrev_b32_e32 v3, 2, v26
	v_lshl_add_u32 v8, v2, 3, 0
	s_waitcnt lgkmcnt(0)
	s_barrier
	buffer_gl0_inv
	v_lshlrev_b32_e32 v36, 2, v32
	v_cmp_gt_u32_e64 s0, 16, v0
	v_pk_add_f16 v11, v9, v11 neg_lo:[0,1] neg_hi:[0,1]
	v_pk_add_f16 v12, v10, v12 neg_lo:[0,1] neg_hi:[0,1]
	;; [unrolled: 1-line block ×4, first 2 shown]
	v_pk_fma_f16 v9, v9, 2.0, v11 op_sel_hi:[1,0,1] neg_lo:[0,0,1] neg_hi:[0,0,1]
	v_pk_fma_f16 v10, v10, 2.0, v12 op_sel_hi:[1,0,1] neg_lo:[0,0,1] neg_hi:[0,0,1]
	;; [unrolled: 1-line block ×4, first 2 shown]
	ds_write2_b32 v17, v9, v11 offset1:1
	ds_write2_b32 v8, v10, v12 offset1:1
	ds_write2_b32 v22, v13, v15 offset1:1
	ds_write2_b32 v21, v14, v16 offset1:1
	s_waitcnt lgkmcnt(0)
	s_barrier
	buffer_gl0_inv
	global_load_dword v27, v3, s[8:9]
	v_lshlrev_b32_e32 v3, 2, v7
	v_lshlrev_b32_e32 v9, 2, v2
	v_sub_nc_u32_e32 v12, v21, v23
	v_add_nc_u32_e32 v10, 0x800, v20
	v_lshlrev_b32_e32 v16, 1, v0
	v_sub_nc_u32_e32 v11, v22, v3
	v_sub_nc_u32_e32 v13, v8, v9
	ds_read_b32 v28, v11
	ds_read_b32 v29, v12
	ds_read_b32 v30, v20 offset:3136
	ds_read2_b32 v[18:19], v10 offset0:48 offset1:160
	ds_read2st64_b32 v[24:25], v20 offset1:7
	ds_read_b32 v31, v13
	v_lshlrev_b32_e32 v17, 1, v2
	v_lshlrev_b32_e32 v14, 1, v7
	;; [unrolled: 1-line block ×3, first 2 shown]
	v_and_or_b32 v33, 0xfc, v16, v26
	s_waitcnt vmcnt(0) lgkmcnt(0)
	v_and_or_b32 v34, 0x1fc, v17, v26
	v_and_or_b32 v35, 0x3fc, v14, v26
	v_and_or_b32 v26, 0x3fc, v15, v26
	v_lshl_add_u32 v33, v33, 2, 0
	s_barrier
	v_lshl_add_u32 v34, v34, 2, 0
	v_lshl_add_u32 v35, v35, 2, 0
	;; [unrolled: 1-line block ×3, first 2 shown]
	buffer_gl0_inv
	v_sub_nc_u32_e32 v9, 0, v9
	v_pk_mul_f16 v40, v27, v25 op_sel:[0,1]
	v_pk_mul_f16 v39, v27, v18 op_sel:[0,1]
	;; [unrolled: 1-line block ×4, first 2 shown]
	v_pk_fma_f16 v44, v27, v25, v40 op_sel:[0,0,1] op_sel_hi:[1,1,0]
	v_pk_fma_f16 v25, v27, v25, v40 op_sel:[0,0,1] op_sel_hi:[1,0,0] neg_lo:[1,0,0] neg_hi:[1,0,0]
	v_pk_fma_f16 v43, v27, v18, v39 op_sel:[0,0,1] op_sel_hi:[1,1,0]
	v_pk_fma_f16 v18, v27, v18, v39 op_sel:[0,0,1] op_sel_hi:[1,0,0] neg_lo:[1,0,0] neg_hi:[1,0,0]
	;; [unrolled: 2-line block ×4, first 2 shown]
	v_bfi_b32 v25, 0xffff, v44, v25
	v_bfi_b32 v18, 0xffff, v43, v18
	;; [unrolled: 1-line block ×4, first 2 shown]
	v_pk_add_f16 v25, v24, v25 neg_lo:[0,1] neg_hi:[0,1]
	v_pk_add_f16 v18, v31, v18 neg_lo:[0,1] neg_hi:[0,1]
	;; [unrolled: 1-line block ×4, first 2 shown]
	v_pk_fma_f16 v24, v24, 2.0, v25 op_sel_hi:[1,0,1] neg_lo:[0,0,1] neg_hi:[0,0,1]
	v_pk_fma_f16 v30, v31, 2.0, v18 op_sel_hi:[1,0,1] neg_lo:[0,0,1] neg_hi:[0,0,1]
	v_pk_fma_f16 v28, v28, 2.0, v19 op_sel_hi:[1,0,1] neg_lo:[0,0,1] neg_hi:[0,0,1]
	v_and_b32_e32 v31, 7, v0
	v_pk_fma_f16 v29, v29, 2.0, v27 op_sel_hi:[1,0,1] neg_lo:[0,0,1] neg_hi:[0,0,1]
	ds_write2_b32 v33, v24, v25 offset1:2
	ds_write2_b32 v34, v30, v18 offset1:2
	;; [unrolled: 1-line block ×4, first 2 shown]
	s_waitcnt lgkmcnt(0)
	s_barrier
	buffer_gl0_inv
	global_load_dword v26, v36, s[8:9] offset:8
	ds_read_b32 v27, v11
	ds_read_b32 v28, v12
	ds_read_b32 v29, v20 offset:3136
	ds_read2_b32 v[18:19], v10 offset0:48 offset1:160
	ds_read2st64_b32 v[24:25], v20 offset1:7
	ds_read_b32 v30, v13
	v_and_or_b32 v33, 0xf8, v16, v32
	v_and_or_b32 v34, 0x1f8, v17, v32
	;; [unrolled: 1-line block ×4, first 2 shown]
	v_lshlrev_b32_e32 v36, 2, v31
	v_lshl_add_u32 v33, v33, 2, 0
	v_lshl_add_u32 v34, v34, 2, 0
	;; [unrolled: 1-line block ×3, first 2 shown]
	s_waitcnt vmcnt(0) lgkmcnt(0)
	s_barrier
	buffer_gl0_inv
	v_pk_mul_f16 v40, v26, v25 op_sel:[0,1]
	v_pk_mul_f16 v39, v26, v18 op_sel:[0,1]
	;; [unrolled: 1-line block ×4, first 2 shown]
	v_pk_fma_f16 v44, v26, v25, v40 op_sel:[0,0,1] op_sel_hi:[1,1,0]
	v_pk_fma_f16 v25, v26, v25, v40 op_sel:[0,0,1] op_sel_hi:[1,0,0] neg_lo:[1,0,0] neg_hi:[1,0,0]
	v_pk_fma_f16 v43, v26, v18, v39 op_sel:[0,0,1] op_sel_hi:[1,1,0]
	v_pk_fma_f16 v18, v26, v18, v39 op_sel:[0,0,1] op_sel_hi:[1,0,0] neg_lo:[1,0,0] neg_hi:[1,0,0]
	;; [unrolled: 2-line block ×4, first 2 shown]
	v_bfi_b32 v25, 0xffff, v44, v25
	v_bfi_b32 v18, 0xffff, v43, v18
	;; [unrolled: 1-line block ×3, first 2 shown]
	v_lshl_add_u32 v29, v32, 2, 0
	v_bfi_b32 v26, 0xffff, v41, v26
	v_pk_add_f16 v25, v24, v25 neg_lo:[0,1] neg_hi:[0,1]
	v_pk_add_f16 v18, v30, v18 neg_lo:[0,1] neg_hi:[0,1]
	v_pk_add_f16 v19, v27, v19 neg_lo:[0,1] neg_hi:[0,1]
	v_and_b32_e32 v32, 15, v0
	v_pk_add_f16 v26, v28, v26 neg_lo:[0,1] neg_hi:[0,1]
	v_pk_fma_f16 v24, v24, 2.0, v25 op_sel_hi:[1,0,1] neg_lo:[0,0,1] neg_hi:[0,0,1]
	v_pk_fma_f16 v30, v30, 2.0, v18 op_sel_hi:[1,0,1] neg_lo:[0,0,1] neg_hi:[0,0,1]
	;; [unrolled: 1-line block ×4, first 2 shown]
	ds_write2_b32 v33, v24, v25 offset1:4
	ds_write2_b32 v34, v30, v18 offset1:4
	;; [unrolled: 1-line block ×4, first 2 shown]
	s_waitcnt lgkmcnt(0)
	s_barrier
	buffer_gl0_inv
	global_load_dword v26, v36, s[8:9] offset:24
	ds_read_b32 v27, v11
	ds_read_b32 v28, v12
	ds_read_b32 v29, v20 offset:3136
	ds_read2_b32 v[18:19], v10 offset0:48 offset1:160
	ds_read2st64_b32 v[24:25], v20 offset1:7
	ds_read_b32 v30, v13
	v_and_or_b32 v33, 0xf0, v16, v31
	v_and_or_b32 v34, 0x1f0, v17, v31
	;; [unrolled: 1-line block ×4, first 2 shown]
	v_lshlrev_b32_e32 v36, 2, v32
	v_lshl_add_u32 v33, v33, 2, 0
	v_lshl_add_u32 v34, v34, 2, 0
	;; [unrolled: 1-line block ×3, first 2 shown]
	s_waitcnt vmcnt(0) lgkmcnt(0)
	s_barrier
	buffer_gl0_inv
	v_pk_mul_f16 v40, v26, v25 op_sel:[0,1]
	v_pk_mul_f16 v39, v26, v18 op_sel:[0,1]
	;; [unrolled: 1-line block ×4, first 2 shown]
	v_pk_fma_f16 v44, v26, v25, v40 op_sel:[0,0,1] op_sel_hi:[1,1,0]
	v_pk_fma_f16 v25, v26, v25, v40 op_sel:[0,0,1] op_sel_hi:[1,0,0] neg_lo:[1,0,0] neg_hi:[1,0,0]
	v_pk_fma_f16 v43, v26, v18, v39 op_sel:[0,0,1] op_sel_hi:[1,1,0]
	v_pk_fma_f16 v18, v26, v18, v39 op_sel:[0,0,1] op_sel_hi:[1,0,0] neg_lo:[1,0,0] neg_hi:[1,0,0]
	;; [unrolled: 2-line block ×4, first 2 shown]
	v_bfi_b32 v25, 0xffff, v44, v25
	v_bfi_b32 v18, 0xffff, v43, v18
	;; [unrolled: 1-line block ×3, first 2 shown]
	v_lshl_add_u32 v29, v31, 2, 0
	v_bfi_b32 v26, 0xffff, v41, v26
	v_pk_add_f16 v25, v24, v25 neg_lo:[0,1] neg_hi:[0,1]
	v_pk_add_f16 v18, v30, v18 neg_lo:[0,1] neg_hi:[0,1]
	v_pk_add_f16 v19, v27, v19 neg_lo:[0,1] neg_hi:[0,1]
	v_and_b32_e32 v31, 31, v0
	v_pk_add_f16 v26, v28, v26 neg_lo:[0,1] neg_hi:[0,1]
	v_pk_fma_f16 v24, v24, 2.0, v25 op_sel_hi:[1,0,1] neg_lo:[0,0,1] neg_hi:[0,0,1]
	v_pk_fma_f16 v30, v30, 2.0, v18 op_sel_hi:[1,0,1] neg_lo:[0,0,1] neg_hi:[0,0,1]
	;; [unrolled: 1-line block ×3, first 2 shown]
	v_and_or_b32 v37, 0x3e0, v14, v32
	v_pk_fma_f16 v28, v28, 2.0, v26 op_sel_hi:[1,0,1] neg_lo:[0,0,1] neg_hi:[0,0,1]
	ds_write2_b32 v33, v24, v25 offset1:8
	ds_write2_b32 v34, v30, v18 offset1:8
	;; [unrolled: 1-line block ×4, first 2 shown]
	s_waitcnt lgkmcnt(0)
	s_barrier
	buffer_gl0_inv
	global_load_dword v26, v36, s[8:9] offset:56
	ds_read_b32 v27, v11
	ds_read_b32 v28, v12
	ds_read_b32 v29, v20 offset:3136
	ds_read2_b32 v[18:19], v10 offset0:48 offset1:160
	ds_read2st64_b32 v[24:25], v20 offset1:7
	ds_read_b32 v30, v13
	v_and_b32_e32 v34, 31, v6
	v_and_or_b32 v35, 0xe0, v16, v32
	v_and_or_b32 v36, 0x1e0, v17, v32
	v_and_b32_e32 v33, 31, v2
	v_and_or_b32 v32, 0x3e0, v15, v32
	v_lshlrev_b32_e32 v40, 2, v34
	v_lshl_add_u32 v35, v35, 2, 0
	v_lshlrev_b32_e32 v38, 2, v31
	v_lshl_add_u32 v36, v36, 2, 0
	;; [unrolled: 2-line block ×3, first 2 shown]
	s_waitcnt vmcnt(0) lgkmcnt(0)
	s_barrier
	buffer_gl0_inv
	v_and_or_b32 v33, 0x1c0, v17, v33
	v_and_or_b32 v34, 0x3c0, v15, v34
	v_lshl_add_u32 v33, v33, 2, 0
	v_pk_mul_f16 v44, v26, v25 op_sel:[0,1]
	v_pk_mul_f16 v43, v26, v18 op_sel:[0,1]
	;; [unrolled: 1-line block ×4, first 2 shown]
	v_pk_fma_f16 v48, v26, v25, v44 op_sel:[0,0,1] op_sel_hi:[1,1,0]
	v_pk_fma_f16 v25, v26, v25, v44 op_sel:[0,0,1] op_sel_hi:[1,0,0] neg_lo:[1,0,0] neg_hi:[1,0,0]
	v_pk_fma_f16 v47, v26, v18, v43 op_sel:[0,0,1] op_sel_hi:[1,1,0]
	v_pk_fma_f16 v18, v26, v18, v43 op_sel:[0,0,1] op_sel_hi:[1,0,0] neg_lo:[1,0,0] neg_hi:[1,0,0]
	;; [unrolled: 2-line block ×4, first 2 shown]
	v_bfi_b32 v25, 0xffff, v48, v25
	v_bfi_b32 v18, 0xffff, v47, v18
	;; [unrolled: 1-line block ×3, first 2 shown]
	v_lshl_add_u32 v29, v32, 2, 0
	v_bfi_b32 v26, 0xffff, v45, v26
	v_pk_add_f16 v25, v24, v25 neg_lo:[0,1] neg_hi:[0,1]
	v_pk_add_f16 v18, v30, v18 neg_lo:[0,1] neg_hi:[0,1]
	;; [unrolled: 1-line block ×4, first 2 shown]
	v_pk_fma_f16 v24, v24, 2.0, v25 op_sel_hi:[1,0,1] neg_lo:[0,0,1] neg_hi:[0,0,1]
	v_pk_fma_f16 v30, v30, 2.0, v18 op_sel_hi:[1,0,1] neg_lo:[0,0,1] neg_hi:[0,0,1]
	;; [unrolled: 1-line block ×4, first 2 shown]
	ds_write2_b32 v35, v24, v25 offset1:16
	ds_write2_b32 v36, v30, v18 offset1:16
	;; [unrolled: 1-line block ×4, first 2 shown]
	s_waitcnt lgkmcnt(0)
	s_barrier
	buffer_gl0_inv
	s_clause 0x2
	global_load_dword v26, v40, s[8:9] offset:120
	global_load_dword v27, v38, s[8:9] offset:120
	;; [unrolled: 1-line block ×3, first 2 shown]
	ds_read_b32 v29, v11
	ds_read_b32 v30, v12
	ds_read_b32 v32, v20 offset:3136
	ds_read2_b32 v[18:19], v10 offset0:48 offset1:160
	ds_read2st64_b32 v[24:25], v20 offset1:7
	ds_read_b32 v35, v13
	v_and_b32_e32 v39, 63, v6
	v_and_or_b32 v40, 0xc0, v16, v31
	v_and_b32_e32 v38, 63, v7
	v_and_b32_e32 v37, 63, v2
	v_and_or_b32 v31, 0x3c0, v14, v31
	v_and_b32_e32 v36, 63, v0
	v_lshlrev_b32_e32 v44, 2, v39
	v_lshl_add_u32 v40, v40, 2, 0
	v_lshlrev_b32_e32 v43, 2, v38
	v_lshlrev_b32_e32 v42, 2, v37
	v_lshl_add_u32 v31, v31, 2, 0
	v_lshlrev_b32_e32 v41, 2, v36
	s_waitcnt vmcnt(0) lgkmcnt(0)
	s_barrier
	buffer_gl0_inv
	v_and_or_b32 v17, 0x180, v17, v37
	v_and_or_b32 v16, 0x80, v16, v36
	;; [unrolled: 1-line block ×4, first 2 shown]
	v_lshl_add_u32 v17, v17, 2, 0
	v_lshl_add_u32 v16, v16, 2, 0
	v_lshl_add_u32 v14, v14, 2, 0
	v_lshl_add_u32 v15, v15, 2, 0
	v_pk_mul_f16 v45, v26, v32 op_sel:[0,1]
	v_pk_mul_f16 v48, v27, v25 op_sel:[0,1]
	;; [unrolled: 1-line block ×4, first 2 shown]
	v_pk_fma_f16 v49, v26, v32, v45 op_sel:[0,0,1] op_sel_hi:[1,1,0]
	v_pk_fma_f16 v52, v27, v25, v48 op_sel:[0,0,1] op_sel_hi:[1,1,0]
	v_pk_fma_f16 v25, v27, v25, v48 op_sel:[0,0,1] op_sel_hi:[1,0,0] neg_lo:[1,0,0] neg_hi:[1,0,0]
	v_pk_fma_f16 v51, v28, v18, v47 op_sel:[0,0,1] op_sel_hi:[1,1,0]
	v_pk_fma_f16 v18, v28, v18, v47 op_sel:[0,0,1] op_sel_hi:[1,0,0] neg_lo:[1,0,0] neg_hi:[1,0,0]
	;; [unrolled: 2-line block ×3, first 2 shown]
	v_pk_fma_f16 v26, v26, v32, v45 op_sel:[0,0,1] op_sel_hi:[1,0,0] neg_lo:[1,0,0] neg_hi:[1,0,0]
	v_bfi_b32 v25, 0xffff, v52, v25
	v_bfi_b32 v18, 0xffff, v51, v18
	v_lshl_add_u32 v27, v34, 2, 0
	v_bfi_b32 v19, 0xffff, v50, v19
	v_bfi_b32 v26, 0xffff, v49, v26
	v_pk_add_f16 v25, v24, v25 neg_lo:[0,1] neg_hi:[0,1]
	v_pk_add_f16 v18, v35, v18 neg_lo:[0,1] neg_hi:[0,1]
	v_pk_add_f16 v19, v29, v19 neg_lo:[0,1] neg_hi:[0,1]
	v_pk_add_f16 v26, v30, v26 neg_lo:[0,1] neg_hi:[0,1]
	v_pk_fma_f16 v24, v24, 2.0, v25 op_sel_hi:[1,0,1] neg_lo:[0,0,1] neg_hi:[0,0,1]
	v_pk_fma_f16 v28, v35, 2.0, v18 op_sel_hi:[1,0,1] neg_lo:[0,0,1] neg_hi:[0,0,1]
	v_pk_fma_f16 v29, v29, 2.0, v19 op_sel_hi:[1,0,1] neg_lo:[0,0,1] neg_hi:[0,0,1]
	v_pk_fma_f16 v30, v30, 2.0, v26 op_sel_hi:[1,0,1] neg_lo:[0,0,1] neg_hi:[0,0,1]
	ds_write2_b32 v40, v24, v25 offset1:32
	ds_write2_b32 v33, v28, v18 offset1:32
	;; [unrolled: 1-line block ×4, first 2 shown]
	s_waitcnt lgkmcnt(0)
	s_barrier
	buffer_gl0_inv
	s_clause 0x3
	global_load_dword v24, v44, s[8:9] offset:248
	global_load_dword v25, v43, s[8:9] offset:248
	;; [unrolled: 1-line block ×4, first 2 shown]
	ds_read_b32 v28, v11
	ds_read_b32 v12, v12
	ds_read_b32 v29, v20 offset:3136
	ds_read2_b32 v[10:11], v10 offset0:48 offset1:160
	ds_read2st64_b32 v[18:19], v20 offset1:7
	ds_read_b32 v13, v13
	s_waitcnt vmcnt(0) lgkmcnt(0)
	s_barrier
	buffer_gl0_inv
	v_pk_mul_f16 v30, v24, v29 op_sel:[0,1]
	v_pk_mul_f16 v31, v25, v11 op_sel:[0,1]
	;; [unrolled: 1-line block ×4, first 2 shown]
	v_pk_fma_f16 v34, v24, v29, v30 op_sel:[0,0,1] op_sel_hi:[1,1,0]
	v_pk_fma_f16 v35, v25, v11, v31 op_sel:[0,0,1] op_sel_hi:[1,1,0]
	;; [unrolled: 1-line block ×4, first 2 shown]
	v_pk_fma_f16 v19, v27, v19, v33 op_sel:[0,0,1] op_sel_hi:[1,0,0] neg_lo:[1,0,0] neg_hi:[1,0,0]
	v_pk_fma_f16 v10, v26, v10, v32 op_sel:[0,0,1] op_sel_hi:[1,0,0] neg_lo:[1,0,0] neg_hi:[1,0,0]
	;; [unrolled: 1-line block ×4, first 2 shown]
                                        ; implicit-def: $vgpr27
                                        ; implicit-def: $vgpr31
                                        ; implicit-def: $vgpr29
                                        ; implicit-def: $vgpr30
                                        ; implicit-def: $vgpr32
	v_bfi_b32 v19, 0xffff, v37, v19
	v_bfi_b32 v10, 0xffff, v36, v10
	;; [unrolled: 1-line block ×4, first 2 shown]
	v_pk_add_f16 v19, v18, v19 neg_lo:[0,1] neg_hi:[0,1]
	v_pk_add_f16 v10, v13, v10 neg_lo:[0,1] neg_hi:[0,1]
	;; [unrolled: 1-line block ×4, first 2 shown]
	v_pk_fma_f16 v18, v18, 2.0, v19 op_sel_hi:[1,0,1] neg_lo:[0,0,1] neg_hi:[0,0,1]
	v_pk_fma_f16 v13, v13, 2.0, v10 op_sel_hi:[1,0,1] neg_lo:[0,0,1] neg_hi:[0,0,1]
	;; [unrolled: 1-line block ×4, first 2 shown]
	ds_write2st64_b32 v16, v18, v19 offset1:1
	ds_write2st64_b32 v17, v13, v10 offset1:1
	;; [unrolled: 1-line block ×4, first 2 shown]
	s_waitcnt lgkmcnt(0)
	s_barrier
	buffer_gl0_inv
	ds_read2st64_b32 v[14:15], v20 offset1:2
	ds_read2st64_b32 v[18:19], v20 offset0:4 offset1:6
	ds_read2st64_b32 v[16:17], v20 offset0:8 offset1:10
	ds_read_b32 v33, v20 offset:3072
	v_lshrrev_b32_e32 v26, 16, v25
	v_add_nc_u32_e32 v24, v8, v9
                                        ; implicit-def: $vgpr9
                                        ; implicit-def: $vgpr28
                                        ; implicit-def: $vgpr11
                                        ; implicit-def: $vgpr13
	s_and_saveexec_b32 s1, s0
	s_cbranch_execz .LBB0_15
; %bb.14:
	v_add_nc_u32_e32 v12, 0xc0, v20
	ds_read_b32 v25, v24
	ds_read2st64_b32 v[8:9], v12 offset0:3 offset1:5
	ds_read2st64_b32 v[10:11], v12 offset0:7 offset1:9
	;; [unrolled: 1-line block ×3, first 2 shown]
	s_waitcnt lgkmcnt(3)
	v_lshrrev_b32_e32 v26, 16, v25
	s_waitcnt lgkmcnt(2)
	v_lshrrev_b32_e32 v27, 16, v9
	;; [unrolled: 2-line block ×3, first 2 shown]
	v_lshrrev_b32_e32 v28, 16, v11
	s_waitcnt lgkmcnt(0)
	v_lshrrev_b32_e32 v29, 16, v12
	v_lshrrev_b32_e32 v31, 16, v13
	;; [unrolled: 1-line block ×3, first 2 shown]
.LBB0_15:
	s_or_b32 exec_lo, exec_lo, s1
	v_mul_u32_u24_e32 v34, 6, v0
	s_waitcnt lgkmcnt(0)
	v_lshrrev_b32_e32 v40, 16, v33
	v_lshrrev_b32_e32 v41, 16, v17
	;; [unrolled: 1-line block ×4, first 2 shown]
	v_lshlrev_b32_e32 v38, 2, v34
	v_lshrrev_b32_e32 v45, 16, v18
	v_lshrrev_b32_e32 v44, 16, v19
	s_clause 0x1
	global_load_dwordx4 v[34:37], v38, s[8:9] offset:504
	global_load_dwordx2 v[38:39], v38, s[8:9] offset:520
	s_waitcnt vmcnt(0)
	s_barrier
	buffer_gl0_inv
	v_mul_f16_sdwa v46, v34, v43 dst_sel:DWORD dst_unused:UNUSED_PAD src0_sel:WORD_1 src1_sel:DWORD
	v_mul_f16_sdwa v47, v34, v15 dst_sel:DWORD dst_unused:UNUSED_PAD src0_sel:WORD_1 src1_sel:DWORD
	v_mul_f16_sdwa v48, v35, v45 dst_sel:DWORD dst_unused:UNUSED_PAD src0_sel:WORD_1 src1_sel:DWORD
	v_mul_f16_sdwa v49, v35, v18 dst_sel:DWORD dst_unused:UNUSED_PAD src0_sel:WORD_1 src1_sel:DWORD
	v_mul_f16_sdwa v52, v37, v42 dst_sel:DWORD dst_unused:UNUSED_PAD src0_sel:WORD_1 src1_sel:DWORD
	v_mul_f16_sdwa v54, v38, v41 dst_sel:DWORD dst_unused:UNUSED_PAD src0_sel:WORD_1 src1_sel:DWORD
	v_mul_f16_sdwa v55, v38, v17 dst_sel:DWORD dst_unused:UNUSED_PAD src0_sel:WORD_1 src1_sel:DWORD
	v_mul_f16_sdwa v56, v39, v40 dst_sel:DWORD dst_unused:UNUSED_PAD src0_sel:WORD_1 src1_sel:DWORD
	v_mul_f16_sdwa v57, v39, v33 dst_sel:DWORD dst_unused:UNUSED_PAD src0_sel:WORD_1 src1_sel:DWORD
	v_mul_f16_sdwa v50, v36, v44 dst_sel:DWORD dst_unused:UNUSED_PAD src0_sel:WORD_1 src1_sel:DWORD
	v_mul_f16_sdwa v51, v36, v19 dst_sel:DWORD dst_unused:UNUSED_PAD src0_sel:WORD_1 src1_sel:DWORD
	v_mul_f16_sdwa v53, v37, v16 dst_sel:DWORD dst_unused:UNUSED_PAD src0_sel:WORD_1 src1_sel:DWORD
	v_fmac_f16_e32 v46, v34, v15
	v_fma_f16 v15, v34, v43, -v47
	v_fmac_f16_e32 v48, v35, v18
	v_fma_f16 v18, v35, v45, -v49
	v_fmac_f16_e32 v52, v37, v16
	v_fmac_f16_e32 v56, v39, v33
	v_fma_f16 v16, v39, v40, -v57
	v_fmac_f16_e32 v54, v38, v17
	v_fma_f16 v17, v38, v41, -v55
	;; [unrolled: 2-line block ×3, first 2 shown]
	v_fma_f16 v33, v37, v42, -v53
	v_add_f16_e32 v34, v46, v56
	v_add_f16_e32 v35, v15, v16
	v_sub_f16_e32 v15, v15, v16
	v_add_f16_e32 v16, v48, v54
	v_add_f16_e32 v37, v18, v17
	v_sub_f16_e32 v38, v48, v54
	v_sub_f16_e32 v17, v18, v17
	v_add_f16_e32 v18, v50, v52
	v_add_f16_e32 v39, v19, v33
	v_sub_f16_e32 v40, v52, v50
	;; [unrolled: 4-line block ×3, first 2 shown]
	v_sub_f16_e32 v42, v16, v34
	v_sub_f16_e32 v43, v37, v35
	;; [unrolled: 1-line block ×6, first 2 shown]
	v_add_f16_e32 v44, v40, v38
	v_add_f16_e32 v45, v19, v17
	v_sub_f16_e32 v46, v40, v38
	v_sub_f16_e32 v47, v19, v17
	;; [unrolled: 1-line block ×3, first 2 shown]
	v_add_f16_e32 v18, v18, v33
	v_add_f16_e32 v33, v39, v41
	v_sub_f16_e32 v38, v38, v36
	v_sub_f16_e32 v40, v36, v40
	;; [unrolled: 1-line block ×3, first 2 shown]
	v_add_f16_e32 v36, v44, v36
	v_add_f16_e32 v15, v45, v15
	v_mul_f16_e32 v34, 0x3a52, v34
	v_mul_f16_e32 v35, 0x3a52, v35
	;; [unrolled: 1-line block ×7, first 2 shown]
	v_add_f16_e32 v48, v18, v14
	v_add_f16_sdwa v14, v33, v14 dst_sel:DWORD dst_unused:UNUSED_PAD src0_sel:DWORD src1_sel:WORD_1
	v_mul_f16_e32 v46, 0xbb00, v38
	v_fmamk_f16 v16, v16, 0x2b26, v34
	v_fmamk_f16 v37, v37, 0x2b26, v35
	v_fma_f16 v39, v42, 0x39e0, -v39
	v_fma_f16 v41, v43, 0x39e0, -v41
	v_fma_f16 v34, v42, 0xb9e0, -v34
	v_fma_f16 v35, v43, 0xb9e0, -v35
	v_fmamk_f16 v42, v40, 0xb574, v44
	v_fmamk_f16 v43, v19, 0xb574, v45
	v_fma_f16 v17, v17, 0xbb00, -v45
	v_fma_f16 v19, v19, 0x3574, -v47
	v_fmamk_f16 v18, v18, 0xbcab, v48
	v_fmamk_f16 v33, v33, 0xbcab, v14
	v_fma_f16 v38, v38, 0xbb00, -v44
	v_fma_f16 v40, v40, 0x3574, -v46
	v_fmac_f16_e32 v42, 0xb70e, v36
	v_fmac_f16_e32 v43, 0xb70e, v15
	;; [unrolled: 1-line block ×4, first 2 shown]
	v_add_f16_e32 v15, v16, v18
	v_add_f16_e32 v16, v37, v33
	v_fmac_f16_e32 v38, 0xb70e, v36
	v_fmac_f16_e32 v40, 0xb70e, v36
	v_add_f16_e32 v36, v39, v18
	v_add_f16_e32 v18, v34, v18
	;; [unrolled: 1-line block ×5, first 2 shown]
	v_sub_f16_e32 v37, v16, v42
	v_add_f16_e32 v39, v19, v18
	v_sub_f16_e32 v41, v34, v40
	v_sub_f16_e32 v44, v36, v17
	v_add_f16_e32 v45, v38, v33
	v_add_f16_e32 v17, v17, v36
	v_sub_f16_e32 v33, v33, v38
	v_sub_f16_e32 v18, v18, v19
	v_add_f16_e32 v19, v40, v34
	v_sub_f16_e32 v15, v15, v43
	v_add_f16_e32 v16, v42, v16
	v_pack_b32_f16 v14, v48, v14
	v_pack_b32_f16 v34, v35, v37
	;; [unrolled: 1-line block ×7, first 2 shown]
	ds_write2st64_b32 v20, v14, v34 offset1:2
	ds_write2st64_b32 v20, v35, v36 offset0:4 offset1:6
	ds_write2st64_b32 v20, v17, v18 offset0:8 offset1:10
	ds_write_b32 v20, v15 offset:3072
	s_and_saveexec_b32 s1, s0
	s_cbranch_execz .LBB0_17
; %bb.16:
	v_and_b32_e32 v14, 0x7f, v2
	v_add_nc_u32_e32 v33, 0xc0, v20
	v_mul_u32_u24_e32 v14, 6, v14
	v_lshlrev_b32_e32 v18, 2, v14
	s_clause 0x1
	global_load_dwordx4 v[14:17], v18, s[8:9] offset:504
	global_load_dwordx2 v[18:19], v18, s[8:9] offset:520
	s_waitcnt vmcnt(1)
	v_mul_f16_sdwa v34, v32, v14 dst_sel:DWORD dst_unused:UNUSED_PAD src0_sel:DWORD src1_sel:WORD_1
	s_waitcnt vmcnt(0)
	v_mul_f16_sdwa v35, v31, v19 dst_sel:DWORD dst_unused:UNUSED_PAD src0_sel:DWORD src1_sel:WORD_1
	v_mul_f16_sdwa v38, v27, v15 dst_sel:DWORD dst_unused:UNUSED_PAD src0_sel:DWORD src1_sel:WORD_1
	v_mul_f16_sdwa v39, v29, v18 dst_sel:DWORD dst_unused:UNUSED_PAD src0_sel:DWORD src1_sel:WORD_1
	v_mul_f16_sdwa v40, v13, v19 dst_sel:DWORD dst_unused:UNUSED_PAD src0_sel:DWORD src1_sel:WORD_1
	v_mul_f16_sdwa v41, v8, v14 dst_sel:DWORD dst_unused:UNUSED_PAD src0_sel:DWORD src1_sel:WORD_1
	v_mul_f16_sdwa v44, v12, v18 dst_sel:DWORD dst_unused:UNUSED_PAD src0_sel:DWORD src1_sel:WORD_1
	v_mul_f16_sdwa v45, v9, v15 dst_sel:DWORD dst_unused:UNUSED_PAD src0_sel:DWORD src1_sel:WORD_1
	v_mul_f16_sdwa v36, v28, v17 dst_sel:DWORD dst_unused:UNUSED_PAD src0_sel:DWORD src1_sel:WORD_1
	v_mul_f16_sdwa v37, v30, v16 dst_sel:DWORD dst_unused:UNUSED_PAD src0_sel:DWORD src1_sel:WORD_1
	v_mul_f16_sdwa v42, v10, v16 dst_sel:DWORD dst_unused:UNUSED_PAD src0_sel:DWORD src1_sel:WORD_1
	v_mul_f16_sdwa v43, v11, v17 dst_sel:DWORD dst_unused:UNUSED_PAD src0_sel:DWORD src1_sel:WORD_1
	v_fmac_f16_e32 v34, v8, v14
	v_fmac_f16_e32 v35, v13, v19
	v_fmac_f16_e32 v38, v9, v15
	v_fmac_f16_e32 v39, v12, v18
	v_fma_f16 v8, v31, v19, -v40
	v_fma_f16 v9, v32, v14, -v41
	;; [unrolled: 1-line block ×4, first 2 shown]
	v_fmac_f16_e32 v36, v11, v17
	v_fmac_f16_e32 v37, v10, v16
	v_fma_f16 v10, v30, v16, -v42
	v_fma_f16 v11, v28, v17, -v43
	v_add_f16_e32 v17, v9, v8
	v_add_f16_e32 v19, v13, v12
	;; [unrolled: 1-line block ×4, first 2 shown]
	v_sub_f16_e32 v14, v34, v35
	v_sub_f16_e32 v15, v36, v37
	;; [unrolled: 1-line block ×3, first 2 shown]
	v_add_f16_e32 v18, v10, v11
	v_add_f16_e32 v28, v37, v36
	v_sub_f16_e32 v8, v9, v8
	v_sub_f16_e32 v9, v11, v10
	;; [unrolled: 1-line block ×3, first 2 shown]
	v_add_f16_e32 v31, v19, v17
	v_add_f16_e32 v35, v29, v27
	v_sub_f16_e32 v11, v14, v15
	v_sub_f16_e32 v12, v15, v16
	v_add_f16_e32 v13, v15, v16
	v_sub_f16_e32 v15, v17, v18
	v_sub_f16_e32 v30, v18, v19
	;; [unrolled: 1-line block ×6, first 2 shown]
	v_add_f16_e32 v9, v9, v10
	v_sub_f16_e32 v16, v16, v14
	v_add_f16_e32 v18, v18, v31
	v_add_f16_e32 v28, v28, v35
	v_sub_f16_e32 v10, v10, v8
	v_sub_f16_e32 v17, v19, v17
	;; [unrolled: 1-line block ×3, first 2 shown]
	v_mul_f16_e32 v12, 0x3846, v12
	v_add_f16_e32 v13, v13, v14
	v_mul_f16_e32 v14, 0x3a52, v15
	v_mul_f16_e32 v15, 0x2b26, v30
	;; [unrolled: 1-line block ×4, first 2 shown]
	v_add_f16_e32 v8, v9, v8
	v_mul_f16_e32 v9, 0xbb00, v16
	v_add_f16_e32 v26, v26, v18
	v_add_f16_e32 v25, v25, v28
	v_mul_f16_e32 v29, 0x2b26, v34
	v_mul_f16_e32 v32, 0xbb00, v10
	v_fmamk_f16 v35, v11, 0xb574, v12
	v_fmamk_f16 v30, v30, 0x2b26, v14
	;; [unrolled: 1-line block ×4, first 2 shown]
	v_fma_f16 v9, v11, 0x3574, -v9
	v_fma_f16 v11, v17, 0xb9e0, -v14
	;; [unrolled: 1-line block ×4, first 2 shown]
	v_fmamk_f16 v17, v18, 0xbcab, v26
	v_fmamk_f16 v18, v28, 0xbcab, v25
	v_fma_f16 v14, v19, 0xb9e0, -v27
	v_fma_f16 v27, v36, 0x3574, -v32
	;; [unrolled: 1-line block ×4, first 2 shown]
	v_fmac_f16_e32 v35, 0xb70e, v13
	v_fmac_f16_e32 v37, 0xb70e, v8
	;; [unrolled: 1-line block ×4, first 2 shown]
	v_add_f16_e32 v13, v30, v17
	v_add_f16_e32 v19, v34, v18
	;; [unrolled: 1-line block ×3, first 2 shown]
	v_fmac_f16_e32 v27, 0xb70e, v8
	v_fmac_f16_e32 v10, 0xb70e, v8
	v_add_f16_e32 v14, v14, v18
	v_add_f16_e32 v15, v15, v17
	;; [unrolled: 1-line block ×3, first 2 shown]
	v_pack_b32_f16 v8, v25, v26
	v_add_f16_e32 v17, v35, v13
	v_add_f16_e32 v25, v9, v11
	v_sub_f16_e32 v9, v11, v9
	v_sub_f16_e32 v11, v13, v35
	v_add_f16_e32 v13, v37, v19
	v_sub_f16_e32 v18, v19, v37
	v_sub_f16_e32 v26, v15, v12
	v_add_f16_e32 v12, v12, v15
	v_add_f16_e32 v15, v27, v14
	v_sub_f16_e32 v19, v16, v10
	v_add_f16_e32 v10, v10, v16
	v_sub_f16_e32 v14, v14, v27
	v_pack_b32_f16 v11, v13, v11
	v_pack_b32_f16 v9, v15, v9
	;; [unrolled: 1-line block ×6, first 2 shown]
	ds_write2_b32 v20, v8, v11 offset0:112 offset1:240
	ds_write2st64_b32 v33, v9, v12 offset0:5 offset1:7
	ds_write2st64_b32 v33, v10, v13 offset0:9 offset1:11
	ds_write_b32 v20, v14 offset:3520
.LBB0_17:
	s_or_b32 exec_lo, exec_lo, s1
	s_waitcnt lgkmcnt(0)
	s_barrier
	buffer_gl0_inv
	ds_read_b32 v8, v20
	v_sub_nc_u32_e32 v9, 0, v1
	s_add_u32 s1, s8, 0xdf8
	s_addc_u32 s4, s9, 0
	s_mov_b32 s5, exec_lo
                                        ; implicit-def: $vgpr13
                                        ; implicit-def: $vgpr11
                                        ; implicit-def: $vgpr12
	v_cmpx_ne_u32_e32 0, v0
	s_xor_b32 s5, exec_lo, s5
	s_cbranch_execz .LBB0_19
; %bb.18:
	v_mov_b32_e32 v1, 0
	v_lshlrev_b64 v[10:11], 2, v[0:1]
	v_add_co_u32 v10, s0, s1, v10
	v_add_co_ci_u32_e64 v11, s0, s4, v11, s0
	global_load_dword v1, v[10:11], off
	ds_read_b32 v10, v9 offset:3584
	s_waitcnt lgkmcnt(0)
	v_pk_add_f16 v11, v8, v10 neg_lo:[0,1] neg_hi:[0,1]
	v_pk_add_f16 v8, v10, v8
	v_bfi_b32 v10, 0xffff, v11, v8
	v_bfi_b32 v8, 0xffff, v8, v11
	v_pk_mul_f16 v10, v10, 0.5 op_sel_hi:[1,0]
	v_pk_mul_f16 v12, v8, 0.5 op_sel_hi:[1,0]
	s_waitcnt vmcnt(0)
	v_pk_mul_f16 v11, v1, v10 op_sel:[1,0]
	v_pk_mul_f16 v1, v1, v10 op_sel_hi:[0,1]
	v_pk_fma_f16 v8, v8, 0.5, v11 op_sel_hi:[1,0,1]
	v_sub_f16_e32 v10, v12, v11
	v_sub_f16_sdwa v12, v11, v12 dst_sel:DWORD dst_unused:UNUSED_PAD src0_sel:WORD_1 src1_sel:WORD_1
	v_pk_add_f16 v13, v8, v1 op_sel:[0,1] op_sel_hi:[1,0]
	v_pk_add_f16 v8, v8, v1 op_sel:[0,1] op_sel_hi:[1,0] neg_lo:[0,1] neg_hi:[0,1]
	v_sub_f16_sdwa v11, v10, v1 dst_sel:DWORD dst_unused:UNUSED_PAD src0_sel:DWORD src1_sel:WORD_1
	v_sub_f16_e32 v12, v12, v1
	v_bfi_b32 v13, 0xffff, v13, v8
                                        ; implicit-def: $vgpr8
.LBB0_19:
	s_or_saveexec_b32 s0, s5
	v_sub_nc_u32_e32 v10, 0, v3
	v_sub_nc_u32_e32 v1, 0, v23
	s_xor_b32 exec_lo, exec_lo, s0
	s_cbranch_execz .LBB0_21
; %bb.20:
	v_mov_b32_e32 v12, 0
	s_waitcnt lgkmcnt(0)
	v_alignbit_b32 v11, s0, v8, 16
	ds_read_u16 v3, v12 offset:1794
	v_pk_add_f16 v13, v11, v8
	v_sub_f16_sdwa v11, v8, v8 dst_sel:DWORD dst_unused:UNUSED_PAD src0_sel:DWORD src1_sel:WORD_1
	v_pack_b32_f16 v13, v13, 0
	s_waitcnt lgkmcnt(0)
	v_xor_b32_e32 v3, 0x8000, v3
	ds_write_b16 v12, v3 offset:1794
.LBB0_21:
	s_or_b32 exec_lo, exec_lo, s0
	v_mov_b32_e32 v3, 0
	v_add_nc_u32_e32 v10, v22, v10
	v_add_nc_u32_e32 v1, v21, v1
	v_lshlrev_b64 v[14:15], 2, v[2:3]
	s_waitcnt lgkmcnt(0)
	v_mov_b32_e32 v8, v3
	v_lshlrev_b64 v[7:8], 2, v[7:8]
	v_add_co_u32 v14, s0, s1, v14
	v_add_co_ci_u32_e64 v15, s0, s4, v15, s0
	v_add_co_u32 v7, s0, s1, v7
	global_load_dword v2, v[14:15], off
	v_add_co_ci_u32_e64 v8, s0, s4, v8, s0
	global_load_dword v8, v[7:8], off
	v_mov_b32_e32 v7, v3
	v_lshlrev_b64 v[6:7], 2, v[6:7]
	v_add_co_u32 v6, s0, s1, v6
	v_add_co_ci_u32_e64 v7, s0, s4, v7, s0
	global_load_dword v6, v[6:7], off
	ds_write_b16 v9, v12 offset:3586
	ds_write_b32 v20, v13
	ds_write_b16 v9, v11 offset:3584
	ds_read_b32 v7, v24
	ds_read_b32 v11, v9 offset:3136
	s_waitcnt lgkmcnt(0)
	v_pk_add_f16 v12, v7, v11 neg_lo:[0,1] neg_hi:[0,1]
	v_pk_add_f16 v7, v7, v11
	v_bfi_b32 v11, 0xffff, v12, v7
	v_bfi_b32 v7, 0xffff, v7, v12
	v_pk_mul_f16 v11, v11, 0.5 op_sel_hi:[1,0]
	v_pk_mul_f16 v7, v7, 0.5 op_sel_hi:[1,0]
	s_waitcnt vmcnt(2)
	v_pk_fma_f16 v12, v2, v11, v7 op_sel:[1,0,0]
	v_pk_mul_f16 v13, v2, v11 op_sel_hi:[0,1]
	v_pk_fma_f16 v14, v2, v11, v7 op_sel:[1,0,0] neg_lo:[1,0,0] neg_hi:[1,0,0]
	v_pk_fma_f16 v2, v2, v11, v7 op_sel:[1,0,0] neg_lo:[0,0,1] neg_hi:[0,0,1]
	v_pk_add_f16 v7, v12, v13 op_sel:[0,1] op_sel_hi:[1,0]
	v_pk_add_f16 v11, v12, v13 op_sel:[0,1] op_sel_hi:[1,0] neg_lo:[0,1] neg_hi:[0,1]
	v_pk_add_f16 v12, v14, v13 op_sel:[0,1] op_sel_hi:[1,0] neg_lo:[0,1] neg_hi:[0,1]
	;; [unrolled: 1-line block ×3, first 2 shown]
	v_bfi_b32 v7, 0xffff, v7, v11
	v_bfi_b32 v2, 0xffff, v12, v2
	ds_write_b32 v24, v7
	ds_write_b32 v9, v2 offset:3136
	ds_read_b32 v2, v10
	ds_read_b32 v7, v9 offset:2688
	s_waitcnt lgkmcnt(0)
	v_pk_add_f16 v11, v2, v7 neg_lo:[0,1] neg_hi:[0,1]
	v_pk_add_f16 v2, v2, v7
	v_bfi_b32 v7, 0xffff, v11, v2
	v_bfi_b32 v2, 0xffff, v2, v11
	v_pk_mul_f16 v7, v7, 0.5 op_sel_hi:[1,0]
	v_pk_mul_f16 v2, v2, 0.5 op_sel_hi:[1,0]
	s_waitcnt vmcnt(1)
	v_pk_mul_f16 v12, v8, v7 op_sel_hi:[0,1]
	v_pk_fma_f16 v11, v8, v7, v2 op_sel:[1,0,0]
	v_pk_fma_f16 v13, v8, v7, v2 op_sel:[1,0,0] neg_lo:[1,0,0] neg_hi:[1,0,0]
	v_pk_fma_f16 v2, v8, v7, v2 op_sel:[1,0,0] neg_lo:[0,0,1] neg_hi:[0,0,1]
	v_pk_add_f16 v7, v11, v12 op_sel:[0,1] op_sel_hi:[1,0]
	v_pk_add_f16 v8, v11, v12 op_sel:[0,1] op_sel_hi:[1,0] neg_lo:[0,1] neg_hi:[0,1]
	v_pk_add_f16 v11, v13, v12 op_sel:[0,1] op_sel_hi:[1,0] neg_lo:[0,1] neg_hi:[0,1]
	;; [unrolled: 1-line block ×3, first 2 shown]
	v_bfi_b32 v7, 0xffff, v7, v8
	v_bfi_b32 v2, 0xffff, v11, v2
	ds_write_b32 v10, v7
	ds_write_b32 v9, v2 offset:2688
	ds_read_b32 v2, v1
	ds_read_b32 v7, v9 offset:2240
	s_waitcnt lgkmcnt(0)
	v_pk_add_f16 v8, v2, v7 neg_lo:[0,1] neg_hi:[0,1]
	v_pk_add_f16 v2, v2, v7
	v_bfi_b32 v7, 0xffff, v8, v2
	v_bfi_b32 v2, 0xffff, v2, v8
	v_pk_mul_f16 v7, v7, 0.5 op_sel_hi:[1,0]
	v_pk_mul_f16 v2, v2, 0.5 op_sel_hi:[1,0]
	s_waitcnt vmcnt(0)
	v_pk_mul_f16 v10, v6, v7 op_sel_hi:[0,1]
	v_pk_fma_f16 v8, v6, v7, v2 op_sel:[1,0,0]
	v_pk_fma_f16 v11, v6, v7, v2 op_sel:[1,0,0] neg_lo:[1,0,0] neg_hi:[1,0,0]
	v_pk_fma_f16 v2, v6, v7, v2 op_sel:[1,0,0] neg_lo:[0,0,1] neg_hi:[0,0,1]
	v_pk_add_f16 v6, v8, v10 op_sel:[0,1] op_sel_hi:[1,0]
	v_pk_add_f16 v7, v8, v10 op_sel:[0,1] op_sel_hi:[1,0] neg_lo:[0,1] neg_hi:[0,1]
	v_pk_add_f16 v8, v11, v10 op_sel:[0,1] op_sel_hi:[1,0] neg_lo:[0,1] neg_hi:[0,1]
	;; [unrolled: 1-line block ×3, first 2 shown]
	v_bfi_b32 v6, 0xffff, v6, v7
	v_bfi_b32 v2, 0xffff, v8, v2
	ds_write_b32 v1, v6
	ds_write_b32 v9, v2 offset:2240
	s_waitcnt lgkmcnt(0)
	s_barrier
	buffer_gl0_inv
	s_and_saveexec_b32 s0, vcc_lo
	s_cbranch_execz .LBB0_24
; %bb.22:
	v_mov_b32_e32 v1, v3
	v_add_nc_u32_e32 v2, 0x200, v20
	v_add_nc_u32_e32 v3, 0x600, v20
	v_add_nc_u32_e32 v14, 0xa00, v20
	ds_read2_b32 v[6:7], v20 offset1:112
	v_lshlrev_b64 v[10:11], 2, v[0:1]
	ds_read2_b32 v[8:9], v2 offset0:96 offset1:208
	ds_read2_b32 v[12:13], v3 offset0:64 offset1:176
	;; [unrolled: 1-line block ×3, first 2 shown]
	v_add_co_u32 v1, vcc_lo, s2, v4
	v_add_co_ci_u32_e32 v2, vcc_lo, s3, v5, vcc_lo
	v_add_co_u32 v3, vcc_lo, v1, v10
	v_add_co_ci_u32_e32 v4, vcc_lo, v2, v11, vcc_lo
	v_cmp_eq_u32_e32 vcc_lo, 0x6f, v0
	v_add_co_u32 v10, s0, 0x800, v3
	v_add_co_ci_u32_e64 v11, s0, 0, v4, s0
	s_waitcnt lgkmcnt(3)
	global_store_dword v[3:4], v6, off
	global_store_dword v[3:4], v7, off offset:448
	s_waitcnt lgkmcnt(2)
	global_store_dword v[3:4], v8, off offset:896
	global_store_dword v[3:4], v9, off offset:1344
	s_waitcnt lgkmcnt(1)
	global_store_dword v[3:4], v12, off offset:1792
	;; [unrolled: 3-line block ×3, first 2 shown]
	global_store_dword v[10:11], v15, off offset:1088
	s_and_b32 exec_lo, exec_lo, vcc_lo
	s_cbranch_execz .LBB0_24
; %bb.23:
	v_mov_b32_e32 v0, 0
	ds_read_b32 v3, v0 offset:3584
	v_add_co_u32 v0, vcc_lo, 0x800, v1
	v_add_co_ci_u32_e32 v1, vcc_lo, 0, v2, vcc_lo
	s_waitcnt lgkmcnt(0)
	global_store_dword v[0:1], v3, off offset:1536
.LBB0_24:
	s_endpgm
	.section	.rodata,"a",@progbits
	.p2align	6, 0x0
	.amdhsa_kernel fft_rtc_back_len896_factors_2_2_2_2_2_2_2_7_wgs_112_tpt_112_half_ip_CI_unitstride_sbrr_R2C_dirReg
		.amdhsa_group_segment_fixed_size 0
		.amdhsa_private_segment_fixed_size 0
		.amdhsa_kernarg_size 88
		.amdhsa_user_sgpr_count 6
		.amdhsa_user_sgpr_private_segment_buffer 1
		.amdhsa_user_sgpr_dispatch_ptr 0
		.amdhsa_user_sgpr_queue_ptr 0
		.amdhsa_user_sgpr_kernarg_segment_ptr 1
		.amdhsa_user_sgpr_dispatch_id 0
		.amdhsa_user_sgpr_flat_scratch_init 0
		.amdhsa_user_sgpr_private_segment_size 0
		.amdhsa_wavefront_size32 1
		.amdhsa_uses_dynamic_stack 0
		.amdhsa_system_sgpr_private_segment_wavefront_offset 0
		.amdhsa_system_sgpr_workgroup_id_x 1
		.amdhsa_system_sgpr_workgroup_id_y 0
		.amdhsa_system_sgpr_workgroup_id_z 0
		.amdhsa_system_sgpr_workgroup_info 0
		.amdhsa_system_vgpr_workitem_id 0
		.amdhsa_next_free_vgpr 58
		.amdhsa_next_free_sgpr 21
		.amdhsa_reserve_vcc 1
		.amdhsa_reserve_flat_scratch 0
		.amdhsa_float_round_mode_32 0
		.amdhsa_float_round_mode_16_64 0
		.amdhsa_float_denorm_mode_32 3
		.amdhsa_float_denorm_mode_16_64 3
		.amdhsa_dx10_clamp 1
		.amdhsa_ieee_mode 1
		.amdhsa_fp16_overflow 0
		.amdhsa_workgroup_processor_mode 1
		.amdhsa_memory_ordered 1
		.amdhsa_forward_progress 0
		.amdhsa_shared_vgpr_count 0
		.amdhsa_exception_fp_ieee_invalid_op 0
		.amdhsa_exception_fp_denorm_src 0
		.amdhsa_exception_fp_ieee_div_zero 0
		.amdhsa_exception_fp_ieee_overflow 0
		.amdhsa_exception_fp_ieee_underflow 0
		.amdhsa_exception_fp_ieee_inexact 0
		.amdhsa_exception_int_div_zero 0
	.end_amdhsa_kernel
	.text
.Lfunc_end0:
	.size	fft_rtc_back_len896_factors_2_2_2_2_2_2_2_7_wgs_112_tpt_112_half_ip_CI_unitstride_sbrr_R2C_dirReg, .Lfunc_end0-fft_rtc_back_len896_factors_2_2_2_2_2_2_2_7_wgs_112_tpt_112_half_ip_CI_unitstride_sbrr_R2C_dirReg
                                        ; -- End function
	.section	.AMDGPU.csdata,"",@progbits
; Kernel info:
; codeLenInByte = 7332
; NumSgprs: 23
; NumVgprs: 58
; ScratchSize: 0
; MemoryBound: 0
; FloatMode: 240
; IeeeMode: 1
; LDSByteSize: 0 bytes/workgroup (compile time only)
; SGPRBlocks: 2
; VGPRBlocks: 7
; NumSGPRsForWavesPerEU: 23
; NumVGPRsForWavesPerEU: 58
; Occupancy: 16
; WaveLimiterHint : 1
; COMPUTE_PGM_RSRC2:SCRATCH_EN: 0
; COMPUTE_PGM_RSRC2:USER_SGPR: 6
; COMPUTE_PGM_RSRC2:TRAP_HANDLER: 0
; COMPUTE_PGM_RSRC2:TGID_X_EN: 1
; COMPUTE_PGM_RSRC2:TGID_Y_EN: 0
; COMPUTE_PGM_RSRC2:TGID_Z_EN: 0
; COMPUTE_PGM_RSRC2:TIDIG_COMP_CNT: 0
	.text
	.p2alignl 6, 3214868480
	.fill 48, 4, 3214868480
	.type	__hip_cuid_38d4dfc69a4d9340,@object ; @__hip_cuid_38d4dfc69a4d9340
	.section	.bss,"aw",@nobits
	.globl	__hip_cuid_38d4dfc69a4d9340
__hip_cuid_38d4dfc69a4d9340:
	.byte	0                               ; 0x0
	.size	__hip_cuid_38d4dfc69a4d9340, 1

	.ident	"AMD clang version 19.0.0git (https://github.com/RadeonOpenCompute/llvm-project roc-6.4.0 25133 c7fe45cf4b819c5991fe208aaa96edf142730f1d)"
	.section	".note.GNU-stack","",@progbits
	.addrsig
	.addrsig_sym __hip_cuid_38d4dfc69a4d9340
	.amdgpu_metadata
---
amdhsa.kernels:
  - .args:
      - .actual_access:  read_only
        .address_space:  global
        .offset:         0
        .size:           8
        .value_kind:     global_buffer
      - .offset:         8
        .size:           8
        .value_kind:     by_value
      - .actual_access:  read_only
        .address_space:  global
        .offset:         16
        .size:           8
        .value_kind:     global_buffer
      - .actual_access:  read_only
        .address_space:  global
        .offset:         24
        .size:           8
        .value_kind:     global_buffer
      - .offset:         32
        .size:           8
        .value_kind:     by_value
      - .actual_access:  read_only
        .address_space:  global
        .offset:         40
        .size:           8
        .value_kind:     global_buffer
      - .actual_access:  read_only
        .address_space:  global
        .offset:         48
        .size:           8
        .value_kind:     global_buffer
      - .offset:         56
        .size:           4
        .value_kind:     by_value
      - .actual_access:  read_only
        .address_space:  global
        .offset:         64
        .size:           8
        .value_kind:     global_buffer
      - .actual_access:  read_only
        .address_space:  global
        .offset:         72
        .size:           8
        .value_kind:     global_buffer
      - .address_space:  global
        .offset:         80
        .size:           8
        .value_kind:     global_buffer
    .group_segment_fixed_size: 0
    .kernarg_segment_align: 8
    .kernarg_segment_size: 88
    .language:       OpenCL C
    .language_version:
      - 2
      - 0
    .max_flat_workgroup_size: 112
    .name:           fft_rtc_back_len896_factors_2_2_2_2_2_2_2_7_wgs_112_tpt_112_half_ip_CI_unitstride_sbrr_R2C_dirReg
    .private_segment_fixed_size: 0
    .sgpr_count:     23
    .sgpr_spill_count: 0
    .symbol:         fft_rtc_back_len896_factors_2_2_2_2_2_2_2_7_wgs_112_tpt_112_half_ip_CI_unitstride_sbrr_R2C_dirReg.kd
    .uniform_work_group_size: 1
    .uses_dynamic_stack: false
    .vgpr_count:     58
    .vgpr_spill_count: 0
    .wavefront_size: 32
    .workgroup_processor_mode: 1
amdhsa.target:   amdgcn-amd-amdhsa--gfx1030
amdhsa.version:
  - 1
  - 2
...

	.end_amdgpu_metadata
